;; amdgpu-corpus repo=ROCm/rocFFT kind=compiled arch=gfx906 opt=O3
	.text
	.amdgcn_target "amdgcn-amd-amdhsa--gfx906"
	.amdhsa_code_object_version 6
	.protected	bluestein_single_back_len120_dim1_dp_op_CI_CI ; -- Begin function bluestein_single_back_len120_dim1_dp_op_CI_CI
	.globl	bluestein_single_back_len120_dim1_dp_op_CI_CI
	.p2align	8
	.type	bluestein_single_back_len120_dim1_dp_op_CI_CI,@function
bluestein_single_back_len120_dim1_dp_op_CI_CI: ; @bluestein_single_back_len120_dim1_dp_op_CI_CI
; %bb.0:
	v_mul_u32_u24_e32 v1, 0x1556, v0
	s_load_dwordx4 s[8:11], s[4:5], 0x28
	v_lshrrev_b32_e32 v1, 16, v1
	v_mad_u64_u32 v[130:131], s[0:1], s6, 5, v[1:2]
	v_mov_b32_e32 v72, 0
	v_mov_b32_e32 v131, v72
	s_waitcnt lgkmcnt(0)
	v_cmp_gt_u64_e32 vcc, s[8:9], v[130:131]
	s_and_saveexec_b64 s[0:1], vcc
	s_cbranch_execz .LBB0_15
; %bb.1:
	s_load_dwordx4 s[0:3], s[4:5], 0x18
	v_mul_lo_u16_e32 v1, 12, v1
	v_sub_u16_e32 v131, v0, v1
	v_lshlrev_b32_e32 v77, 4, v131
	v_or_b32_e32 v134, 0x50, v131
	s_waitcnt lgkmcnt(0)
	s_load_dwordx4 s[12:15], s[0:1], 0x0
	v_or_b32_e32 v132, 32, v131
	s_waitcnt lgkmcnt(0)
	v_mad_u64_u32 v[0:1], s[0:1], s14, v130, 0
	v_mad_u64_u32 v[2:3], s[0:1], s12, v131, 0
	s_mul_i32 s6, s12, 0x140
	v_mad_u64_u32 v[4:5], s[0:1], s15, v130, v[1:2]
	s_load_dwordx2 s[14:15], s[4:5], 0x0
	v_mad_u64_u32 v[5:6], s[0:1], s13, v131, v[3:4]
	v_mov_b32_e32 v1, v4
	v_lshlrev_b64 v[0:1], 4, v[0:1]
	v_mov_b32_e32 v6, s11
	v_mov_b32_e32 v3, v5
	v_add_co_u32_e32 v26, vcc, s10, v0
	v_addc_co_u32_e32 v27, vcc, v6, v1, vcc
	v_lshlrev_b64 v[0:1], 4, v[2:3]
	s_mul_i32 s0, s13, 0x140
	v_add_co_u32_e32 v0, vcc, v26, v0
	s_mul_hi_u32 s1, s12, 0x140
	v_addc_co_u32_e32 v1, vcc, v27, v1, vcc
	s_add_i32 s0, s1, s0
	v_mov_b32_e32 v3, s0
	v_add_co_u32_e32 v2, vcc, s6, v0
	v_addc_co_u32_e32 v3, vcc, v1, v3, vcc
	global_load_dwordx4 v[28:31], v[0:1], off
	global_load_dwordx4 v[32:35], v[2:3], off
	s_waitcnt lgkmcnt(0)
	global_load_dwordx4 v[12:15], v77, s[14:15]
	global_load_dwordx4 v[8:11], v77, s[14:15] offset:320
	v_mov_b32_e32 v1, s0
	v_add_co_u32_e32 v0, vcc, s6, v2
	v_addc_co_u32_e32 v1, vcc, v3, v1, vcc
	v_mov_b32_e32 v5, s0
	v_mad_u64_u32 v[2:3], s[0:1], s12, v134, 0
	v_add_co_u32_e32 v4, vcc, s6, v0
	v_mad_u64_u32 v[6:7], s[0:1], s13, v134, v[3:4]
	v_addc_co_u32_e32 v5, vcc, v1, v5, vcc
	v_mov_b32_e32 v3, v6
	global_load_dwordx4 v[36:39], v[0:1], off
	global_load_dwordx4 v[40:43], v[4:5], off
	global_load_dwordx4 v[20:23], v77, s[14:15] offset:640
	global_load_dwordx4 v[16:19], v77, s[14:15] offset:960
	v_lshlrev_b64 v[0:1], 4, v[2:3]
	s_mul_i32 s0, s13, 40
	s_mul_hi_u32 s1, s12, 40
	v_add_co_u32_e32 v6, vcc, v26, v0
	s_add_i32 s1, s1, s0
	s_mul_i32 s0, s12, 40
	v_addc_co_u32_e32 v7, vcc, v27, v1, vcc
	s_lshl_b64 s[16:17], s[0:1], 4
	global_load_dwordx4 v[44:47], v[6:7], off
	global_load_dwordx4 v[0:3], v77, s[14:15] offset:1280
	v_mov_b32_e32 v6, s17
	v_add_co_u32_e32 v24, vcc, s16, v4
	v_addc_co_u32_e32 v25, vcc, v5, v6, vcc
	global_load_dwordx4 v[4:7], v77, s[14:15] offset:1600
	global_load_dwordx4 v[48:51], v[24:25], off
	s_mov_b32 s0, 0xcccccccd
	v_mul_hi_u32 v52, v130, s0
	v_mov_b32_e32 v53, s15
	v_add_co_u32_e32 v128, vcc, s14, v77
	v_lshrrev_b32_e32 v52, 2, v52
	v_lshl_add_u32 v52, v52, 2, v52
	v_sub_u32_e32 v52, v130, v52
	v_addc_co_u32_e32 v129, vcc, 0, v53, vcc
	v_mul_u32_u24_e32 v78, 0x78, v52
	s_load_dwordx2 s[6:7], s[4:5], 0x38
	s_load_dwordx4 s[8:11], s[2:3], 0x0
	v_lshlrev_b32_e32 v135, 4, v78
	v_add_u32_e32 v133, v77, v135
	v_cmp_gt_u16_e32 vcc, 8, v131
	s_waitcnt vmcnt(9)
	v_mul_f64 v[52:53], v[30:31], v[14:15]
	v_mul_f64 v[54:55], v[28:29], v[14:15]
	s_waitcnt vmcnt(8)
	v_mul_f64 v[60:61], v[34:35], v[10:11]
	v_mul_f64 v[62:63], v[32:33], v[10:11]
	v_fma_f64 v[28:29], v[28:29], v[12:13], v[52:53]
	v_fma_f64 v[30:31], v[30:31], v[12:13], -v[54:55]
	v_fma_f64 v[32:33], v[32:33], v[8:9], v[60:61]
	v_fma_f64 v[34:35], v[34:35], v[8:9], -v[62:63]
	s_waitcnt vmcnt(5)
	v_mul_f64 v[64:65], v[38:39], v[22:23]
	v_mul_f64 v[66:67], v[36:37], v[22:23]
	s_waitcnt vmcnt(4)
	v_mul_f64 v[68:69], v[42:43], v[18:19]
	v_mul_f64 v[70:71], v[40:41], v[18:19]
	v_fma_f64 v[36:37], v[36:37], v[20:21], v[64:65]
	v_fma_f64 v[38:39], v[38:39], v[20:21], -v[66:67]
	v_fma_f64 v[40:41], v[40:41], v[16:17], v[68:69]
	v_fma_f64 v[42:43], v[42:43], v[16:17], -v[70:71]
	;; [unrolled: 10-line block ×3, first 2 shown]
	ds_write_b128 v133, v[28:31]
	ds_write_b128 v133, v[32:35] offset:320
	ds_write_b128 v133, v[36:39] offset:640
	;; [unrolled: 1-line block ×5, first 2 shown]
	s_and_saveexec_b64 s[2:3], vcc
	s_cbranch_execz .LBB0_3
; %bb.2:
	v_mad_u64_u32 v[32:33], s[0:1], s12, v132, 0
	v_mov_b32_e32 v28, 0xfffffa80
	v_mad_u64_u32 v[24:25], s[0:1], s12, v28, v[24:25]
	v_mov_b32_e32 v28, v33
	v_mad_u64_u32 v[33:34], s[0:1], s13, v132, v[28:29]
	s_mul_i32 s18, s13, 0xfffffa80
	s_sub_i32 s0, s18, s12
	v_lshlrev_b64 v[32:33], 4, v[32:33]
	v_add_u32_e32 v25, s0, v25
	v_add_co_u32_e64 v32, s[0:1], v26, v32
	v_or_b32_e32 v45, 0x48, v131
	v_addc_co_u32_e64 v33, s[0:1], v27, v33, s[0:1]
	v_mad_u64_u32 v[48:49], s[0:1], s12, v45, 0
	global_load_dwordx4 v[28:31], v[24:25], off
	v_mov_b32_e32 v62, s17
	v_mov_b32_e32 v44, v49
	v_mad_u64_u32 v[49:50], s[0:1], s13, v45, v[44:45]
	v_add_co_u32_e64 v24, s[0:1], s16, v24
	v_lshlrev_b64 v[48:49], 4, v[48:49]
	v_addc_co_u32_e64 v25, s[0:1], v25, v62, s[0:1]
	v_add_co_u32_e64 v60, s[0:1], v26, v48
	v_or_b32_e32 v63, 0x70, v131
	v_addc_co_u32_e64 v61, s[0:1], v27, v49, s[0:1]
	v_mad_u64_u32 v[68:69], s[0:1], s12, v63, 0
	global_load_dwordx4 v[32:35], v[32:33], off
	s_nop 0
	global_load_dwordx4 v[36:39], v[128:129], off offset:192
	global_load_dwordx4 v[40:43], v[128:129], off offset:512
	global_load_dwordx4 v[44:47], v[24:25], off
	global_load_dwordx4 v[48:51], v[60:61], off
	global_load_dwordx4 v[52:55], v[128:129], off offset:832
	global_load_dwordx4 v[56:59], v[128:129], off offset:1152
	v_mov_b32_e32 v60, v69
	v_mad_u64_u32 v[69:70], s[0:1], s13, v63, v[60:61]
	v_add_co_u32_e64 v24, s[0:1], s16, v24
	v_addc_co_u32_e64 v25, s[0:1], v25, v62, s[0:1]
	global_load_dwordx4 v[60:63], v[24:25], off
	global_load_dwordx4 v[64:67], v[128:129], off offset:1472
	v_lshlrev_b64 v[24:25], 4, v[68:69]
	v_add_co_u32_e64 v73, s[0:1], v26, v24
	v_addc_co_u32_e64 v74, s[0:1], v27, v25, s[0:1]
	global_load_dwordx4 v[24:27], v[128:129], off offset:1792
	global_load_dwordx4 v[68:71], v[73:74], off
	s_waitcnt vmcnt(9)
	v_mul_f64 v[73:74], v[30:31], v[38:39]
	v_mul_f64 v[38:39], v[28:29], v[38:39]
	s_waitcnt vmcnt(5)
	v_mul_f64 v[75:76], v[46:47], v[54:55]
	v_mul_f64 v[54:55], v[44:45], v[54:55]
	;; [unrolled: 1-line block ×4, first 2 shown]
	v_fma_f64 v[28:29], v[28:29], v[36:37], v[73:74]
	s_waitcnt vmcnt(4)
	v_mul_f64 v[73:74], v[50:51], v[58:59]
	v_mul_f64 v[58:59], v[48:49], v[58:59]
	s_waitcnt vmcnt(2)
	v_mul_f64 v[77:78], v[62:63], v[66:67]
	v_mul_f64 v[66:67], v[60:61], v[66:67]
	v_fma_f64 v[30:31], v[30:31], v[36:37], -v[38:39]
	v_fma_f64 v[36:37], v[44:45], v[52:53], v[75:76]
	v_fma_f64 v[38:39], v[46:47], v[52:53], -v[54:55]
	v_fma_f64 v[32:33], v[32:33], v[40:41], v[79:80]
	v_fma_f64 v[34:35], v[34:35], v[40:41], -v[81:82]
	s_waitcnt vmcnt(0)
	v_mul_f64 v[83:84], v[70:71], v[26:27]
	v_mul_f64 v[26:27], v[68:69], v[26:27]
	v_fma_f64 v[42:43], v[60:61], v[64:65], v[77:78]
	v_fma_f64 v[44:45], v[62:63], v[64:65], -v[66:67]
	v_fma_f64 v[46:47], v[48:49], v[56:57], v[73:74]
	v_fma_f64 v[48:49], v[50:51], v[56:57], -v[58:59]
	;; [unrolled: 2-line block ×3, first 2 shown]
	ds_write_b128 v133, v[28:31] offset:192
	ds_write_b128 v133, v[36:39] offset:832
	;; [unrolled: 1-line block ×6, first 2 shown]
.LBB0_3:
	s_or_b64 exec, exec, s[2:3]
	s_waitcnt lgkmcnt(0)
	; wave barrier
	s_waitcnt lgkmcnt(0)
	ds_read_b128 v[64:67], v133
	ds_read_b128 v[32:35], v133 offset:320
	ds_read_b128 v[68:71], v133 offset:640
	;; [unrolled: 1-line block ×5, first 2 shown]
	s_load_dwordx2 s[2:3], s[4:5], 0x8
                                        ; implicit-def: $vgpr24_vgpr25
                                        ; implicit-def: $vgpr36_vgpr37
                                        ; implicit-def: $vgpr40_vgpr41
                                        ; implicit-def: $vgpr44_vgpr45
                                        ; implicit-def: $vgpr48_vgpr49
                                        ; implicit-def: $vgpr52_vgpr53
	s_and_saveexec_b64 s[0:1], vcc
	s_cbranch_execz .LBB0_5
; %bb.4:
	ds_read_b128 v[24:27], v133 offset:192
	ds_read_b128 v[36:39], v133 offset:512
	;; [unrolled: 1-line block ×6, first 2 shown]
.LBB0_5:
	s_or_b64 exec, exec, s[0:1]
	s_waitcnt lgkmcnt(0)
	v_add_f64 v[73:74], v[68:69], v[60:61]
	v_add_f64 v[77:78], v[58:59], v[30:31]
	;; [unrolled: 1-line block ×5, first 2 shown]
	v_add_co_u32_e64 v109, s[0:1], 12, v131
	s_mov_b32 s0, 0xe8584caa
	v_fma_f64 v[64:65], v[73:74], -0.5, v[64:65]
	v_add_f64 v[73:74], v[56:57], -v[28:29]
	v_fma_f64 v[77:78], v[77:78], -0.5, v[34:35]
	s_mov_b32 s1, 0x3febb67a
	s_mov_b32 s5, 0xbfebb67a
	;; [unrolled: 1-line block ×3, first 2 shown]
	v_add_f64 v[81:82], v[70:71], -v[62:63]
	v_add_f64 v[83:84], v[58:59], -v[30:31]
	v_fma_f64 v[75:76], v[75:76], -0.5, v[32:33]
	v_add_f64 v[87:88], v[79:80], v[60:61]
	v_fma_f64 v[79:80], v[73:74], s[4:5], v[77:78]
	v_add_f64 v[70:71], v[66:67], v[70:71]
	v_fma_f64 v[66:67], v[85:86], -0.5, v[66:67]
	v_add_f64 v[60:61], v[68:69], -v[60:61]
	v_fma_f64 v[68:69], v[73:74], s[0:1], v[77:78]
	v_add_f64 v[34:35], v[34:35], v[58:59]
	v_fma_f64 v[91:92], v[83:84], s[4:5], v[75:76]
	v_add_f64 v[32:33], v[32:33], v[56:57]
	v_fma_f64 v[56:57], v[83:84], s[0:1], v[75:76]
	v_mul_f64 v[73:74], v[79:80], s[0:1]
	v_add_f64 v[95:96], v[70:71], v[62:63]
	v_fma_f64 v[97:98], v[60:61], s[4:5], v[66:67]
	v_fma_f64 v[99:100], v[60:61], s[0:1], v[66:67]
	v_mul_f64 v[58:59], v[68:69], -0.5
	v_add_f64 v[30:31], v[34:35], v[30:31]
	v_add_f64 v[34:35], v[44:45], v[52:53]
	;; [unrolled: 1-line block ×3, first 2 shown]
	v_mul_f64 v[75:76], v[91:92], -0.5
	v_add_f64 v[28:29], v[32:33], v[28:29]
	v_fma_f64 v[32:33], v[56:57], 0.5, v[73:74]
	v_mul_f64 v[56:57], v[56:57], s[4:5]
	v_fma_f64 v[105:106], v[91:92], s[4:5], v[58:59]
	v_add_f64 v[62:63], v[46:47], -v[54:55]
	v_fma_f64 v[34:35], v[34:35], -0.5, v[36:37]
	v_fma_f64 v[58:59], v[60:61], -0.5, v[38:39]
	v_add_f64 v[60:61], v[44:45], -v[52:53]
	v_fma_f64 v[89:90], v[81:82], s[0:1], v[64:65]
	v_fma_f64 v[93:94], v[81:82], s[4:5], v[64:65]
	;; [unrolled: 1-line block ×3, first 2 shown]
	v_fma_f64 v[103:104], v[79:80], 0.5, v[56:57]
	v_add_f64 v[56:57], v[40:41], v[48:49]
	v_add_f64 v[64:65], v[42:43], v[50:51]
	v_fma_f64 v[70:71], v[62:63], s[4:5], v[34:35]
	v_fma_f64 v[68:69], v[60:61], s[4:5], v[58:59]
	;; [unrolled: 1-line block ×4, first 2 shown]
	v_add_f64 v[73:74], v[87:88], v[28:29]
	v_add_f64 v[77:78], v[89:90], v[32:33]
	v_add_f64 v[85:86], v[87:88], -v[28:29]
	v_fma_f64 v[28:29], v[56:57], -0.5, v[24:25]
	v_add_f64 v[58:59], v[42:43], -v[50:51]
	v_fma_f64 v[60:61], v[64:65], -0.5, v[26:27]
	v_add_f64 v[66:67], v[40:41], -v[48:49]
	v_add_f64 v[89:90], v[89:90], -v[32:33]
	v_mul_f64 v[32:33], v[68:69], s[0:1]
	v_mul_f64 v[87:88], v[70:71], -0.5
	v_mul_f64 v[91:92], v[34:35], s[4:5]
	v_mul_f64 v[107:108], v[62:63], -0.5
	v_fma_f64 v[56:57], v[58:59], s[0:1], v[28:29]
	v_fma_f64 v[58:59], v[58:59], s[4:5], v[28:29]
	;; [unrolled: 1-line block ×4, first 2 shown]
	v_fma_f64 v[60:61], v[34:35], 0.5, v[32:33]
	v_fma_f64 v[62:63], v[62:63], s[0:1], v[87:88]
	v_fma_f64 v[68:69], v[68:69], 0.5, v[91:92]
	v_fma_f64 v[70:71], v[70:71], s[4:5], v[107:108]
	v_add_f64 v[75:76], v[95:96], v[30:31]
	v_add_f64 v[87:88], v[95:96], -v[30:31]
	v_add_f64 v[79:80], v[97:98], v[103:104]
	v_add_f64 v[81:82], v[93:94], v[101:102]
	v_add_f64 v[28:29], v[56:57], -v[60:61]
	v_add_f64 v[32:33], v[58:59], -v[62:63]
	;; [unrolled: 1-line block ×4, first 2 shown]
	v_add_f64 v[83:84], v[99:100], v[105:106]
	v_add_f64 v[91:92], v[97:98], -v[103:104]
	v_add_f64 v[93:94], v[93:94], -v[101:102]
	;; [unrolled: 1-line block ×3, first 2 shown]
	v_mul_lo_u16_e32 v97, 6, v131
	v_lshl_add_u32 v137, v97, 4, v135
	v_mul_u32_u24_e32 v136, 6, v109
	s_waitcnt lgkmcnt(0)
	; wave barrier
	ds_write_b128 v137, v[73:76]
	ds_write_b128 v137, v[77:80] offset:16
	ds_write_b128 v137, v[81:84] offset:32
	;; [unrolled: 1-line block ×5, first 2 shown]
	s_and_saveexec_b64 s[0:1], vcc
	s_cbranch_execz .LBB0_7
; %bb.6:
	v_add_f64 v[26:27], v[26:27], v[42:43]
	v_add_f64 v[38:39], v[38:39], v[46:47]
	;; [unrolled: 1-line block ×12, first 2 shown]
	v_add_f64 v[42:43], v[40:41], -v[44:45]
	v_add_f64 v[46:47], v[40:41], v[44:45]
	v_add_f64 v[44:45], v[48:49], v[50:51]
	v_add_f64 v[40:41], v[48:49], -v[50:51]
	v_lshl_add_u32 v48, v136, 4, v135
	ds_write_b128 v48, v[28:31] offset:64
	ds_write_b128 v48, v[36:39] offset:16
	;; [unrolled: 1-line block ×3, first 2 shown]
	ds_write_b128 v48, v[44:47]
	ds_write_b128 v48, v[40:43] offset:48
	ds_write_b128 v48, v[32:35] offset:80
.LBB0_7:
	s_or_b64 exec, exec, s[0:1]
	v_add_u32_e32 v24, -6, v131
	v_cmp_gt_u16_e64 s[0:1], 6, v131
	v_cndmask_b32_e64 v68, v24, v131, s[0:1]
	v_mul_i32_i24_e32 v25, 0x90, v68
	v_mul_hi_i32_i24_e32 v24, 0x90, v68
	v_mov_b32_e32 v86, s3
	v_add_co_u32_e64 v69, s[0:1], s2, v25
	v_addc_co_u32_e64 v70, s[0:1], v86, v24, s[0:1]
	s_waitcnt lgkmcnt(0)
	; wave barrier
	s_waitcnt lgkmcnt(0)
	global_load_dwordx4 v[48:51], v[69:70], off
	global_load_dwordx4 v[40:43], v[69:70], off offset:16
	global_load_dwordx4 v[36:39], v[69:70], off offset:32
	;; [unrolled: 1-line block ×8, first 2 shown]
	ds_read_b128 v[73:76], v133
	ds_read_b128 v[77:80], v133 offset:192
	ds_read_b128 v[87:90], v133 offset:384
	;; [unrolled: 1-line block ×3, first 2 shown]
	v_mov_b32_e32 v85, v72
	ds_read_b128 v[69:72], v133 offset:768
	ds_read_b128 v[95:98], v133 offset:960
	;; [unrolled: 1-line block ×6, first 2 shown]
	s_mov_b32 s0, 0x134454ff
	s_mov_b32 s1, 0x3fee6f0e
	;; [unrolled: 1-line block ×12, first 2 shown]
	s_waitcnt lgkmcnt(0)
	; wave barrier
	s_waitcnt lgkmcnt(0)
	v_or_b32_e32 v84, 48, v131
	s_waitcnt vmcnt(8)
	v_mul_f64 v[81:82], v[79:80], v[50:51]
	s_waitcnt vmcnt(7)
	v_mul_f64 v[117:118], v[89:90], v[42:43]
	v_mul_f64 v[119:120], v[87:88], v[42:43]
	s_waitcnt vmcnt(6)
	v_mul_f64 v[121:122], v[93:94], v[38:39]
	;; [unrolled: 3-line block ×6, first 2 shown]
	v_mul_f64 v[115:116], v[77:78], v[50:51]
	v_mul_f64 v[154:155], v[107:108], v[58:59]
	s_waitcnt vmcnt(0)
	v_mul_f64 v[156:157], v[113:114], v[66:67]
	v_mul_f64 v[158:159], v[111:112], v[66:67]
	v_fma_f64 v[77:78], v[77:78], v[48:49], -v[81:82]
	v_fma_f64 v[81:82], v[87:88], v[40:41], -v[117:118]
	v_fma_f64 v[87:88], v[89:90], v[40:41], v[119:120]
	v_fma_f64 v[89:90], v[91:92], v[36:37], -v[121:122]
	v_fma_f64 v[91:92], v[93:94], v[36:37], v[123:124]
	;; [unrolled: 2-line block ×5, first 2 shown]
	v_fma_f64 v[107:108], v[107:108], v[56:57], -v[152:153]
	v_mul_f64 v[148:149], v[105:106], v[46:47]
	v_fma_f64 v[79:80], v[79:80], v[48:49], v[115:116]
	v_fma_f64 v[101:102], v[109:110], v[56:57], v[154:155]
	v_fma_f64 v[109:110], v[111:112], v[64:65], -v[156:157]
	v_fma_f64 v[111:112], v[113:114], v[64:65], v[158:159]
	v_add_f64 v[113:114], v[73:74], v[81:82]
	v_add_f64 v[115:116], v[69:70], v[97:98]
	v_add_f64 v[121:122], v[81:82], -v[69:70]
	v_add_f64 v[123:124], v[107:108], -v[97:98]
	v_add_f64 v[125:126], v[81:82], v[107:108]
	v_add_f64 v[142:143], v[75:76], v[87:88]
	;; [unrolled: 1-line block ×3, first 2 shown]
	v_mul_f64 v[150:151], v[103:104], v[46:47]
	v_fma_f64 v[103:104], v[103:104], v[44:45], -v[148:149]
	v_add_f64 v[117:118], v[87:88], -v[101:102]
	v_add_f64 v[119:120], v[71:72], -v[99:100]
	;; [unrolled: 1-line block ×6, first 2 shown]
	v_add_f64 v[152:153], v[87:88], v[101:102]
	v_add_f64 v[87:88], v[71:72], -v[87:88]
	v_add_f64 v[69:70], v[113:114], v[69:70]
	v_add_f64 v[113:114], v[121:122], v[123:124]
	v_fma_f64 v[115:116], v[115:116], -0.5, v[73:74]
	v_fma_f64 v[73:74], v[125:126], -0.5, v[73:74]
	v_add_f64 v[71:72], v[142:143], v[71:72]
	v_fma_f64 v[123:124], v[144:145], -0.5, v[75:76]
	v_fma_f64 v[105:106], v[105:106], v[44:45], v[150:151]
	v_add_f64 v[140:141], v[97:98], -v[107:108]
	v_add_f64 v[150:151], v[101:102], -v[99:100]
	;; [unrolled: 1-line block ×3, first 2 shown]
	v_add_f64 v[156:157], v[77:78], v[89:90]
	v_fma_f64 v[75:76], v[152:153], -0.5, v[75:76]
	v_add_f64 v[69:70], v[69:70], v[97:98]
	v_fma_f64 v[97:98], v[117:118], s[0:1], v[115:116]
	v_fma_f64 v[115:116], v[117:118], s[16:17], v[115:116]
	;; [unrolled: 1-line block ×4, first 2 shown]
	v_add_f64 v[71:72], v[71:72], v[99:100]
	v_fma_f64 v[99:100], v[81:82], s[16:17], v[123:124]
	v_fma_f64 v[123:124], v[81:82], s[0:1], v[123:124]
	v_add_f64 v[158:159], v[93:94], v[103:104]
	v_add_f64 v[121:122], v[138:139], v[140:141]
	;; [unrolled: 1-line block ×4, first 2 shown]
	v_fma_f64 v[144:145], v[146:147], s[0:1], v[75:76]
	v_fma_f64 v[75:76], v[146:147], s[16:17], v[75:76]
	v_fma_f64 v[97:98], v[119:120], s[4:5], v[97:98]
	v_fma_f64 v[115:116], v[119:120], s[18:19], v[115:116]
	v_fma_f64 v[119:120], v[117:118], s[4:5], v[142:143]
	v_fma_f64 v[73:74], v[117:118], s[18:19], v[73:74]
	v_fma_f64 v[99:100], v[146:147], s[18:19], v[99:100]
	v_add_f64 v[107:108], v[69:70], v[107:108]
	v_add_f64 v[101:102], v[71:72], v[101:102]
	v_fma_f64 v[69:70], v[146:147], s[4:5], v[123:124]
	v_add_f64 v[71:72], v[89:90], v[109:110]
	v_add_f64 v[160:161], v[91:92], -v[111:112]
	v_fma_f64 v[138:139], v[158:159], -0.5, v[77:78]
	v_fma_f64 v[97:98], v[113:114], s[12:13], v[97:98]
	v_fma_f64 v[113:114], v[113:114], s[12:13], v[115:116]
	;; [unrolled: 1-line block ×5, first 2 shown]
	v_add_f64 v[99:100], v[95:96], -v[105:106]
	v_add_f64 v[121:122], v[89:90], -v[93:94]
	;; [unrolled: 1-line block ×3, first 2 shown]
	v_fma_f64 v[142:143], v[81:82], s[18:19], v[144:145]
	v_add_f64 v[87:88], v[87:88], v[154:155]
	v_fma_f64 v[125:126], v[125:126], s[12:13], v[69:70]
	v_fma_f64 v[69:70], v[71:72], -0.5, v[77:78]
	v_fma_f64 v[71:72], v[81:82], s[4:5], v[75:76]
	v_add_f64 v[75:76], v[140:141], v[103:104]
	v_add_f64 v[81:82], v[95:96], v[105:106]
	v_fma_f64 v[73:74], v[160:161], s[0:1], v[138:139]
	v_add_f64 v[77:78], v[121:122], v[123:124]
	v_fma_f64 v[121:122], v[87:88], s[12:13], v[142:143]
	v_fma_f64 v[123:124], v[160:161], s[16:17], v[138:139]
	;; [unrolled: 1-line block ×4, first 2 shown]
	v_add_f64 v[142:143], v[75:76], v[109:110]
	v_add_f64 v[71:72], v[91:92], v[111:112]
	v_fma_f64 v[75:76], v[81:82], -0.5, v[79:80]
	v_add_f64 v[81:82], v[89:90], -v[109:110]
	v_add_f64 v[144:145], v[93:94], -v[103:104]
	v_fma_f64 v[87:88], v[99:100], s[18:19], v[123:124]
	v_fma_f64 v[123:124], v[160:161], s[4:5], v[138:139]
	v_add_f64 v[138:139], v[79:80], v[91:92]
	v_fma_f64 v[73:74], v[99:100], s[4:5], v[73:74]
	v_fma_f64 v[71:72], v[71:72], -0.5, v[79:80]
	v_add_f64 v[79:80], v[93:94], -v[89:90]
	v_add_f64 v[89:90], v[103:104], -v[109:110]
	v_fma_f64 v[93:94], v[81:82], s[16:17], v[75:76]
	v_add_f64 v[103:104], v[91:92], -v[95:96]
	v_add_f64 v[109:110], v[111:112], -v[105:106]
	v_fma_f64 v[69:70], v[99:100], s[0:1], v[69:70]
	v_add_f64 v[99:100], v[138:139], v[95:96]
	v_fma_f64 v[138:139], v[144:145], s[0:1], v[71:72]
	v_add_f64 v[91:92], v[95:96], -v[91:92]
	v_add_f64 v[95:96], v[105:106], -v[111:112]
	v_fma_f64 v[93:94], v[144:145], s[18:19], v[93:94]
	v_fma_f64 v[71:72], v[144:145], s[16:17], v[71:72]
	v_add_f64 v[103:104], v[103:104], v[109:110]
	v_fma_f64 v[75:76], v[81:82], s[0:1], v[75:76]
	v_add_f64 v[79:80], v[79:80], v[89:90]
	v_fma_f64 v[89:90], v[81:82], s[18:19], v[138:139]
	v_fma_f64 v[69:70], v[160:161], s[18:19], v[69:70]
	v_add_f64 v[91:92], v[91:92], v[95:96]
	v_fma_f64 v[73:74], v[77:78], s[12:13], v[73:74]
	v_fma_f64 v[71:72], v[81:82], s[4:5], v[71:72]
	;; [unrolled: 1-line block ×6, first 2 shown]
	v_add_f64 v[95:96], v[99:100], v[105:106]
	v_fma_f64 v[87:88], v[91:92], s[12:13], v[89:90]
	v_fma_f64 v[79:80], v[79:80], s[12:13], v[69:70]
	;; [unrolled: 1-line block ×3, first 2 shown]
	v_mul_f64 v[89:90], v[93:94], s[4:5]
	v_fma_f64 v[75:76], v[103:104], s[12:13], v[75:76]
	v_mul_f64 v[99:100], v[77:78], s[20:21]
	v_mul_f64 v[109:110], v[81:82], s[16:17]
	v_add_f64 v[105:106], v[95:96], v[111:112]
	v_mul_f64 v[91:92], v[87:88], s[0:1]
	v_mul_f64 v[95:96], v[79:80], s[12:13]
	;; [unrolled: 1-line block ×3, first 2 shown]
	v_fma_f64 v[103:104], v[73:74], s[20:21], v[89:90]
	v_mul_f64 v[89:90], v[73:74], s[18:19]
	v_mul_f64 v[123:124], v[75:76], s[20:21]
	v_fma_f64 v[109:110], v[87:88], s[12:13], v[109:110]
	v_fma_f64 v[144:145], v[75:76], s[4:5], -v[99:100]
	v_fma_f64 v[81:82], v[81:82], s[12:13], v[91:92]
	v_fma_f64 v[138:139], v[71:72], s[0:1], -v[95:96]
	v_fma_f64 v[148:149], v[79:80], s[16:17], -v[111:112]
	v_add_f64 v[69:70], v[107:108], v[142:143]
	v_fma_f64 v[146:147], v[93:94], s[20:21], v[89:90]
	v_fma_f64 v[123:124], v[77:78], s[18:19], -v[123:124]
	v_add_f64 v[71:72], v[101:102], v[105:106]
	v_add_f64 v[73:74], v[97:98], v[103:104]
	;; [unrolled: 1-line block ×9, first 2 shown]
	v_cmp_lt_u16_e64 s[0:1], 5, v131
	v_add_f64 v[95:96], v[107:108], -v[142:143]
	v_add_f64 v[99:100], v[97:98], -v[103:104]
	;; [unrolled: 1-line block ×4, first 2 shown]
	v_cndmask_b32_e64 v81, 0, 60, s[0:1]
	v_add_f64 v[101:102], v[119:120], -v[146:147]
	v_add_u32_e32 v68, v68, v81
	v_add_f64 v[107:108], v[117:118], -v[138:139]
	v_add_f64 v[105:106], v[121:122], -v[109:110]
	v_lshl_add_u32 v138, v68, 4, v135
	v_add_f64 v[111:112], v[113:114], -v[144:145]
	v_add_f64 v[109:110], v[140:141], -v[148:149]
	;; [unrolled: 1-line block ×3, first 2 shown]
	ds_write_b128 v138, v[69:72]
	ds_write_b128 v138, v[73:76] offset:96
	ds_write_b128 v138, v[77:80] offset:192
	;; [unrolled: 1-line block ×9, first 2 shown]
	v_add_co_u32_e64 v87, s[0:1], -12, v131
	v_addc_co_u32_e64 v88, s[0:1], 0, -1, s[0:1]
	v_cmp_gt_u64_e64 s[0:1], 60, v[84:85]
	v_lshlrev_b32_e32 v104, 4, v131
	s_waitcnt lgkmcnt(0)
	; wave barrier
	s_waitcnt lgkmcnt(0)
	global_load_dwordx4 v[68:71], v104, s[2:3] offset:864
	global_load_dwordx4 v[76:79], v104, s[2:3] offset:1056
	;; [unrolled: 1-line block ×4, first 2 shown]
	v_cndmask_b32_e64 v125, v87, v84, s[0:1]
	v_cndmask_b32_e64 v126, v88, 0, s[0:1]
	v_lshlrev_b64 v[84:85], 4, v[125:126]
	v_add_co_u32_e64 v84, s[0:1], s2, v84
	v_addc_co_u32_e64 v85, s[0:1], v86, v85, s[0:1]
	global_load_dwordx4 v[84:87], v[84:85], off offset:864
	ds_read_b128 v[88:91], v133 offset:960
	ds_read_b128 v[92:95], v133 offset:1152
	;; [unrolled: 1-line block ×4, first 2 shown]
	ds_read_b128 v[105:108], v133
	ds_read_b128 v[109:112], v133 offset:192
	ds_read_b128 v[113:116], v133 offset:1536
	;; [unrolled: 1-line block ×3, first 2 shown]
	s_add_u32 s0, s14, 0x780
	s_addc_u32 s1, s15, 0
	s_waitcnt vmcnt(4) lgkmcnt(7)
	v_mul_f64 v[121:122], v[90:91], v[70:71]
	v_mul_f64 v[123:124], v[88:89], v[70:71]
	s_waitcnt vmcnt(2) lgkmcnt(5)
	v_mul_f64 v[145:146], v[98:99], v[74:75]
	v_mul_f64 v[147:148], v[96:97], v[74:75]
	;; [unrolled: 3-line block ×3, first 2 shown]
	v_mul_f64 v[126:127], v[94:95], v[78:79]
	v_mul_f64 v[139:140], v[92:93], v[78:79]
	v_fma_f64 v[88:89], v[88:89], v[68:69], -v[121:122]
	v_fma_f64 v[90:91], v[90:91], v[68:69], v[123:124]
	s_waitcnt vmcnt(0) lgkmcnt(0)
	v_mul_f64 v[153:154], v[119:120], v[86:87]
	v_mul_f64 v[155:156], v[117:118], v[86:87]
	v_fma_f64 v[126:127], v[92:93], v[76:77], -v[126:127]
	v_fma_f64 v[143:144], v[94:95], v[76:77], v[139:140]
	v_add_f64 v[121:122], v[105:106], -v[88:89]
	v_add_f64 v[123:124], v[107:108], -v[90:91]
	v_fma_f64 v[88:89], v[96:97], v[72:73], -v[145:146]
	v_fma_f64 v[90:91], v[98:99], v[72:73], v[147:148]
	v_fma_f64 v[96:97], v[113:114], v[80:81], -v[149:150]
	v_fma_f64 v[98:99], v[115:116], v[80:81], v[151:152]
	;; [unrolled: 2-line block ×3, first 2 shown]
	ds_read_b128 v[92:95], v133 offset:384
	ds_read_b128 v[139:142], v133 offset:576
	v_add_f64 v[113:114], v[109:110], -v[126:127]
	v_add_f64 v[115:116], v[111:112], -v[143:144]
	v_fma_f64 v[105:106], v[105:106], 2.0, -v[121:122]
	s_waitcnt lgkmcnt(1)
	v_add_f64 v[117:118], v[92:93], -v[88:89]
	v_add_f64 v[119:120], v[94:95], -v[90:91]
	s_waitcnt lgkmcnt(0)
	v_add_f64 v[88:89], v[139:140], -v[96:97]
	v_add_f64 v[90:91], v[141:142], -v[98:99]
	;; [unrolled: 1-line block ×4, first 2 shown]
	v_fma_f64 v[107:108], v[107:108], 2.0, -v[123:124]
	v_fma_f64 v[109:110], v[109:110], 2.0, -v[113:114]
	;; [unrolled: 1-line block ×9, first 2 shown]
	v_lshl_add_u32 v139, v125, 4, v135
	ds_write_b128 v133, v[105:108]
	ds_write_b128 v133, v[121:124] offset:960
	ds_write_b128 v133, v[109:112] offset:192
	;; [unrolled: 1-line block ×7, first 2 shown]
	ds_write_b128 v139, v[100:103]
	ds_write_b128 v139, v[96:99] offset:960
	s_waitcnt lgkmcnt(0)
	; wave barrier
	s_waitcnt lgkmcnt(0)
	global_load_dwordx4 v[105:108], v[128:129], off offset:1920
	global_load_dwordx4 v[109:112], v104, s[0:1] offset:320
	global_load_dwordx4 v[113:116], v104, s[0:1] offset:640
	;; [unrolled: 1-line block ×5, first 2 shown]
	ds_read_b128 v[144:147], v133
	ds_read_b128 v[148:151], v133 offset:320
	ds_read_b128 v[152:155], v133 offset:640
	;; [unrolled: 1-line block ×5, first 2 shown]
	s_waitcnt vmcnt(4) lgkmcnt(4)
	v_mul_f64 v[168:169], v[150:151], v[111:112]
	v_mul_f64 v[111:112], v[148:149], v[111:112]
	s_waitcnt vmcnt(3) lgkmcnt(3)
	v_mul_f64 v[170:171], v[154:155], v[115:116]
	v_mul_f64 v[125:126], v[146:147], v[107:108]
	;; [unrolled: 1-line block ×4, first 2 shown]
	s_waitcnt vmcnt(2) lgkmcnt(2)
	v_mul_f64 v[172:173], v[158:159], v[119:120]
	v_mul_f64 v[119:120], v[156:157], v[119:120]
	s_waitcnt vmcnt(1) lgkmcnt(1)
	v_mul_f64 v[174:175], v[162:163], v[123:124]
	v_mul_f64 v[176:177], v[160:161], v[123:124]
	;; [unrolled: 3-line block ×3, first 2 shown]
	v_fma_f64 v[123:124], v[144:145], v[105:106], -v[125:126]
	v_fma_f64 v[125:126], v[146:147], v[105:106], v[107:108]
	v_fma_f64 v[105:106], v[148:149], v[109:110], -v[168:169]
	v_fma_f64 v[107:108], v[150:151], v[109:110], v[111:112]
	v_fma_f64 v[109:110], v[152:153], v[113:114], -v[170:171]
	v_fma_f64 v[111:112], v[154:155], v[113:114], v[115:116]
	v_fma_f64 v[113:114], v[156:157], v[117:118], -v[172:173]
	v_fma_f64 v[115:116], v[158:159], v[117:118], v[119:120]
	v_fma_f64 v[117:118], v[160:161], v[121:122], -v[174:175]
	v_fma_f64 v[119:120], v[162:163], v[121:122], v[176:177]
	v_fma_f64 v[142:143], v[164:165], v[140:141], -v[178:179]
	v_fma_f64 v[144:145], v[166:167], v[140:141], v[180:181]
	ds_write_b128 v133, v[123:126]
	ds_write_b128 v133, v[105:108] offset:320
	ds_write_b128 v133, v[109:112] offset:640
	ds_write_b128 v133, v[113:116] offset:960
	ds_write_b128 v133, v[117:120] offset:1280
	ds_write_b128 v133, v[142:145] offset:1600
	s_and_saveexec_b64 s[2:3], vcc
	s_cbranch_execz .LBB0_9
; %bb.8:
	v_mov_b32_e32 v105, s1
	v_add_co_u32_e64 v124, s[0:1], s0, v104
	v_addc_co_u32_e64 v125, s[0:1], 0, v105, s[0:1]
	global_load_dwordx4 v[104:107], v[124:125], off offset:192
	global_load_dwordx4 v[108:111], v[124:125], off offset:512
	;; [unrolled: 1-line block ×5, first 2 shown]
	s_nop 0
	global_load_dwordx4 v[124:127], v[124:125], off offset:1792
	ds_read_b128 v[140:143], v133 offset:192
	ds_read_b128 v[144:147], v133 offset:512
	;; [unrolled: 1-line block ×6, first 2 shown]
	s_waitcnt vmcnt(5) lgkmcnt(5)
	v_mul_f64 v[164:165], v[142:143], v[106:107]
	v_mul_f64 v[106:107], v[140:141], v[106:107]
	s_waitcnt vmcnt(4) lgkmcnt(4)
	v_mul_f64 v[166:167], v[146:147], v[110:111]
	v_mul_f64 v[110:111], v[144:145], v[110:111]
	s_waitcnt vmcnt(3) lgkmcnt(3)
	v_mul_f64 v[168:169], v[150:151], v[114:115]
	v_mul_f64 v[114:115], v[148:149], v[114:115]
	s_waitcnt vmcnt(2) lgkmcnt(2)
	v_mul_f64 v[170:171], v[154:155], v[118:119]
	v_mul_f64 v[118:119], v[152:153], v[118:119]
	s_waitcnt vmcnt(1) lgkmcnt(1)
	v_mul_f64 v[172:173], v[158:159], v[122:123]
	v_mul_f64 v[122:123], v[156:157], v[122:123]
	s_waitcnt vmcnt(0) lgkmcnt(0)
	v_mul_f64 v[174:175], v[162:163], v[126:127]
	v_mul_f64 v[126:127], v[160:161], v[126:127]
	v_fma_f64 v[140:141], v[140:141], v[104:105], -v[164:165]
	v_fma_f64 v[142:143], v[142:143], v[104:105], v[106:107]
	v_fma_f64 v[104:105], v[144:145], v[108:109], -v[166:167]
	v_fma_f64 v[106:107], v[146:147], v[108:109], v[110:111]
	;; [unrolled: 2-line block ×6, first 2 shown]
	ds_write_b128 v133, v[140:143] offset:192
	ds_write_b128 v133, v[104:107] offset:512
	;; [unrolled: 1-line block ×6, first 2 shown]
.LBB0_9:
	s_or_b64 exec, exec, s[2:3]
	s_waitcnt lgkmcnt(0)
	; wave barrier
	s_waitcnt lgkmcnt(0)
	ds_read_b128 v[116:119], v133
	ds_read_b128 v[108:111], v133 offset:320
	ds_read_b128 v[120:123], v133 offset:640
	;; [unrolled: 1-line block ×5, first 2 shown]
	s_and_saveexec_b64 s[0:1], vcc
	s_cbranch_execz .LBB0_11
; %bb.10:
	v_lshl_add_u32 v32, v131, 4, v135
	ds_read_b128 v[92:95], v133 offset:192
	ds_read_b128 v[88:91], v32 offset:512
	;; [unrolled: 1-line block ×6, first 2 shown]
.LBB0_11:
	s_or_b64 exec, exec, s[0:1]
	s_waitcnt lgkmcnt(1)
	v_add_f64 v[140:141], v[120:121], v[124:125]
	s_waitcnt lgkmcnt(0)
	v_add_f64 v[146:147], v[114:115], v[106:107]
	v_add_f64 v[142:143], v[116:117], v[120:121]
	v_add_f64 v[144:145], v[122:123], -v[126:127]
	v_add_f64 v[148:149], v[112:113], v[104:105]
	v_add_f64 v[150:151], v[112:113], -v[104:105]
	s_mov_b32 s0, 0xe8584caa
	s_mov_b32 s1, 0xbfebb67a
	v_fma_f64 v[116:117], v[140:141], -0.5, v[116:117]
	v_fma_f64 v[146:147], v[146:147], -0.5, v[110:111]
	s_mov_b32 s3, 0x3febb67a
	v_add_f64 v[140:141], v[118:119], v[122:123]
	v_add_f64 v[122:123], v[122:123], v[126:127]
	s_mov_b32 s2, s0
	v_fma_f64 v[148:149], v[148:149], -0.5, v[108:109]
	v_add_f64 v[154:155], v[114:115], -v[106:107]
	v_fma_f64 v[152:153], v[144:145], s[0:1], v[116:117]
	v_fma_f64 v[144:145], v[144:145], s[2:3], v[116:117]
	;; [unrolled: 1-line block ×4, first 2 shown]
	v_fma_f64 v[118:119], v[122:123], -0.5, v[118:119]
	v_add_f64 v[120:121], v[120:121], -v[124:125]
	v_add_f64 v[108:109], v[108:109], v[112:113]
	v_add_f64 v[110:111], v[110:111], v[114:115]
	;; [unrolled: 1-line block ×3, first 2 shown]
	v_fma_f64 v[112:113], v[154:155], s[0:1], v[148:149]
	v_mul_f64 v[124:125], v[116:117], s[0:1]
	v_mul_f64 v[114:115], v[116:117], 0.5
	v_add_f64 v[126:127], v[140:141], v[126:127]
	v_fma_f64 v[122:123], v[154:155], s[2:3], v[148:149]
	v_mul_f64 v[140:141], v[146:147], s[0:1]
	v_mul_f64 v[116:117], v[146:147], -0.5
	v_fma_f64 v[146:147], v[120:121], s[2:3], v[118:119]
	v_fma_f64 v[148:149], v[120:121], s[0:1], v[118:119]
	v_add_f64 v[118:119], v[108:109], v[104:105]
	v_add_f64 v[150:151], v[110:111], v[106:107]
	v_fma_f64 v[120:121], v[112:113], 0.5, v[124:125]
	v_fma_f64 v[154:155], v[112:113], s[2:3], v[114:115]
	v_fma_f64 v[124:125], v[122:123], -0.5, v[140:141]
	v_fma_f64 v[156:157], v[122:123], s[2:3], v[116:117]
	v_add_u32_e32 v105, 0x180, v133
	v_add_u32_e32 v104, 0x240, v133
	v_add_f64 v[106:107], v[142:143], v[118:119]
	v_add_f64 v[108:109], v[126:127], v[150:151]
	;; [unrolled: 1-line block ×6, first 2 shown]
	v_add_f64 v[118:119], v[142:143], -v[118:119]
	v_add_f64 v[122:123], v[152:153], -v[120:121]
	;; [unrolled: 1-line block ×6, first 2 shown]
	s_waitcnt lgkmcnt(0)
	; wave barrier
	ds_write_b128 v137, v[106:109]
	ds_write_b128 v137, v[110:113] offset:16
	ds_write_b128 v137, v[114:117] offset:32
	;; [unrolled: 1-line block ×5, first 2 shown]
	s_and_saveexec_b64 s[4:5], vcc
	s_cbranch_execz .LBB0_13
; %bb.12:
	v_add_f64 v[106:107], v[98:99], v[34:35]
	v_add_f64 v[112:113], v[96:97], v[32:33]
	v_add_f64 v[114:115], v[96:97], -v[32:33]
	v_add_f64 v[108:109], v[102:103], v[30:31]
	v_add_f64 v[116:117], v[98:99], -v[34:35]
	;; [unrolled: 2-line block ×3, first 2 shown]
	v_add_f64 v[102:103], v[102:103], -v[30:31]
	v_fma_f64 v[106:107], v[106:107], -0.5, v[90:91]
	v_add_f64 v[90:91], v[90:91], v[98:99]
	v_fma_f64 v[112:113], v[112:113], -0.5, v[88:89]
	v_add_f64 v[98:99], v[100:101], v[28:29]
	v_add_f64 v[100:101], v[92:93], v[100:101]
	v_fma_f64 v[94:95], v[108:109], -0.5, v[94:95]
	v_add_f64 v[88:89], v[88:89], v[96:97]
	v_add_f64 v[96:97], v[118:119], v[30:31]
	v_fma_f64 v[120:121], v[114:115], s[0:1], v[106:107]
	v_fma_f64 v[106:107], v[114:115], s[2:3], v[106:107]
	v_add_f64 v[108:109], v[90:91], v[34:35]
	v_fma_f64 v[34:35], v[116:117], s[2:3], v[112:113]
	v_fma_f64 v[90:91], v[116:117], s[0:1], v[112:113]
	v_fma_f64 v[92:93], v[98:99], -0.5, v[92:93]
	v_add_f64 v[28:29], v[100:101], v[28:29]
	v_fma_f64 v[98:99], v[110:111], s[0:1], v[94:95]
	v_mul_f64 v[30:31], v[120:121], -0.5
	v_mul_f64 v[112:113], v[106:107], 0.5
	v_fma_f64 v[100:101], v[110:111], s[2:3], v[94:95]
	v_mul_f64 v[94:95], v[106:107], s[0:1]
	v_mul_f64 v[106:107], v[120:121], s[0:1]
	v_add_f64 v[32:33], v[88:89], v[32:33]
	v_fma_f64 v[88:89], v[102:103], s[0:1], v[92:93]
	v_fma_f64 v[114:115], v[102:103], s[2:3], v[92:93]
	;; [unrolled: 1-line block ×4, first 2 shown]
	v_add_f64 v[102:103], v[96:97], v[108:109]
	v_fma_f64 v[116:117], v[90:91], 0.5, v[94:95]
	v_fma_f64 v[106:107], v[34:35], -0.5, v[106:107]
	v_add_f64 v[30:31], v[96:97], -v[108:109]
	v_add_f64 v[34:35], v[98:99], -v[110:111]
	;; [unrolled: 1-line block ×3, first 2 shown]
	v_add_f64 v[94:95], v[98:99], v[110:111]
	v_add_f64 v[98:99], v[100:101], v[112:113]
	v_add_f64 v[100:101], v[28:29], v[32:33]
	v_add_f64 v[96:97], v[88:89], v[116:117]
	v_add_f64 v[92:93], v[114:115], v[106:107]
	v_add_f64 v[28:29], v[28:29], -v[32:33]
	v_add_f64 v[88:89], v[88:89], -v[116:117]
	;; [unrolled: 1-line block ×3, first 2 shown]
	v_lshl_add_u32 v106, v136, 4, v135
	ds_write_b128 v106, v[100:103]
	ds_write_b128 v106, v[96:99] offset:16
	ds_write_b128 v106, v[92:95] offset:32
	;; [unrolled: 1-line block ×5, first 2 shown]
.LBB0_13:
	s_or_b64 exec, exec, s[4:5]
	s_waitcnt lgkmcnt(0)
	; wave barrier
	s_waitcnt lgkmcnt(0)
	ds_read_b128 v[28:31], v133
	ds_read_b128 v[32:35], v133 offset:192
	ds_read_b128 v[88:91], v133 offset:384
	;; [unrolled: 1-line block ×5, first 2 shown]
	s_waitcnt lgkmcnt(4)
	v_mul_f64 v[122:123], v[50:51], v[34:35]
	v_mul_f64 v[50:51], v[50:51], v[32:33]
	s_waitcnt lgkmcnt(3)
	v_mul_f64 v[124:125], v[42:43], v[90:91]
	v_mul_f64 v[42:43], v[42:43], v[88:89]
	ds_read_b128 v[106:109], v133 offset:1152
	ds_read_b128 v[110:113], v133 offset:1344
	ds_read_b128 v[114:117], v133 offset:1536
	ds_read_b128 v[118:121], v133 offset:1728
	s_mov_b32 s2, 0x134454ff
	s_mov_b32 s3, 0xbfee6f0e
	v_fma_f64 v[32:33], v[48:49], v[32:33], v[122:123]
	v_fma_f64 v[34:35], v[48:49], v[34:35], -v[50:51]
	s_waitcnt lgkmcnt(6)
	v_mul_f64 v[48:49], v[38:39], v[94:95]
	v_mul_f64 v[38:39], v[38:39], v[92:93]
	v_fma_f64 v[50:51], v[40:41], v[88:89], v[124:125]
	s_waitcnt lgkmcnt(5)
	v_mul_f64 v[88:89], v[26:27], v[98:99]
	v_fma_f64 v[40:41], v[40:41], v[90:91], -v[42:43]
	v_mul_f64 v[26:27], v[26:27], v[96:97]
	s_waitcnt lgkmcnt(4)
	v_mul_f64 v[42:43], v[62:63], v[102:103]
	s_waitcnt lgkmcnt(3)
	v_mul_f64 v[90:91], v[54:55], v[108:109]
	v_fma_f64 v[48:49], v[36:37], v[92:93], v[48:49]
	v_fma_f64 v[36:37], v[36:37], v[94:95], -v[38:39]
	v_mul_f64 v[38:39], v[62:63], v[100:101]
	v_fma_f64 v[62:63], v[24:25], v[96:97], v[88:89]
	v_add_f64 v[88:89], v[28:29], v[50:51]
	v_fma_f64 v[24:25], v[24:25], v[98:99], -v[26:27]
	v_fma_f64 v[26:27], v[60:61], v[100:101], v[42:43]
	v_fma_f64 v[42:43], v[52:53], v[106:107], v[90:91]
	s_waitcnt lgkmcnt(1)
	v_mul_f64 v[90:91], v[58:59], v[114:115]
	v_mul_f64 v[58:59], v[58:59], v[116:117]
	v_fma_f64 v[38:39], v[60:61], v[102:103], -v[38:39]
	v_mul_f64 v[54:55], v[54:55], v[106:107]
	v_add_f64 v[60:61], v[88:89], v[62:63]
	v_mul_f64 v[88:89], v[46:47], v[112:113]
	v_mul_f64 v[46:47], v[46:47], v[110:111]
	v_add_f64 v[92:93], v[62:63], v[42:43]
	v_fma_f64 v[90:91], v[56:57], v[116:117], -v[90:91]
	v_fma_f64 v[56:57], v[56:57], v[114:115], v[58:59]
	s_waitcnt lgkmcnt(0)
	v_mul_f64 v[58:59], v[66:67], v[120:121]
	v_mul_f64 v[66:67], v[66:67], v[118:119]
	v_fma_f64 v[52:53], v[52:53], v[108:109], -v[54:55]
	v_fma_f64 v[54:55], v[44:45], v[110:111], v[88:89]
	v_fma_f64 v[44:45], v[44:45], v[112:113], -v[46:47]
	v_fma_f64 v[88:89], v[92:93], -0.5, v[28:29]
	v_add_f64 v[92:93], v[40:41], -v[90:91]
	v_add_f64 v[96:97], v[50:51], -v[62:63]
	v_fma_f64 v[46:47], v[64:65], v[118:119], v[58:59]
	v_fma_f64 v[58:59], v[64:65], v[120:121], -v[66:67]
	v_add_f64 v[64:65], v[50:51], v[56:57]
	v_add_f64 v[94:95], v[24:25], -v[52:53]
	v_add_f64 v[98:99], v[56:57], -v[42:43]
	s_mov_b32 s14, 0x4755a5e
	v_fma_f64 v[66:67], v[92:93], s[2:3], v[88:89]
	s_mov_b32 s1, 0x3fee6f0e
	s_mov_b32 s0, s2
	;; [unrolled: 1-line block ×3, first 2 shown]
	v_fma_f64 v[88:89], v[92:93], s[0:1], v[88:89]
	v_fma_f64 v[28:29], v[64:65], -0.5, v[28:29]
	s_mov_b32 s5, 0x3fe2cf23
	s_mov_b32 s4, s14
	v_fma_f64 v[64:65], v[94:95], s[14:15], v[66:67]
	v_add_f64 v[66:67], v[96:97], v[98:99]
	v_add_f64 v[96:97], v[24:25], v[52:53]
	v_add_f64 v[60:61], v[60:61], v[42:43]
	v_fma_f64 v[88:89], v[94:95], s[4:5], v[88:89]
	v_fma_f64 v[98:99], v[94:95], s[0:1], v[28:29]
	v_add_f64 v[100:101], v[62:63], -v[50:51]
	v_add_f64 v[102:103], v[42:43], -v[56:57]
	v_add_f64 v[106:107], v[30:31], v[40:41]
	v_add_f64 v[50:51], v[50:51], -v[56:57]
	v_fma_f64 v[96:97], v[96:97], -0.5, v[30:31]
	v_add_f64 v[60:61], v[60:61], v[56:57]
	v_fma_f64 v[56:57], v[66:67], s[12:13], v[64:65]
	v_fma_f64 v[64:65], v[66:67], s[12:13], v[88:89]
	;; [unrolled: 1-line block ×3, first 2 shown]
	v_add_f64 v[88:89], v[100:101], v[102:103]
	v_fma_f64 v[28:29], v[94:95], s[2:3], v[28:29]
	v_add_f64 v[94:95], v[106:107], v[24:25]
	v_fma_f64 v[98:99], v[50:51], s[0:1], v[96:97]
	v_add_f64 v[42:43], v[62:63], -v[42:43]
	v_add_f64 v[62:63], v[40:41], -v[24:25]
	v_add_f64 v[100:101], v[90:91], -v[52:53]
	v_fma_f64 v[96:97], v[50:51], s[2:3], v[96:97]
	v_add_f64 v[102:103], v[40:41], v[90:91]
	v_fma_f64 v[28:29], v[92:93], s[4:5], v[28:29]
	v_add_f64 v[92:93], v[94:95], v[52:53]
	v_add_f64 v[94:95], v[26:27], v[54:55]
	v_fma_f64 v[98:99], v[42:43], s[4:5], v[98:99]
	v_add_f64 v[24:25], v[24:25], -v[40:41]
	v_add_f64 v[62:63], v[62:63], v[100:101]
	v_fma_f64 v[96:97], v[42:43], s[14:15], v[96:97]
	v_fma_f64 v[30:31], v[102:103], -0.5, v[30:31]
	v_add_f64 v[100:101], v[36:37], -v[58:59]
	v_add_f64 v[40:41], v[52:53], -v[90:91]
	v_fma_f64 v[94:95], v[94:95], -0.5, v[32:33]
	v_fma_f64 v[66:67], v[88:89], s[12:13], v[66:67]
	v_fma_f64 v[88:89], v[88:89], s[12:13], v[28:29]
	;; [unrolled: 1-line block ×6, first 2 shown]
	v_add_f64 v[92:93], v[92:93], v[90:91]
	v_add_f64 v[28:29], v[32:33], v[48:49]
	v_fma_f64 v[42:43], v[100:101], s[2:3], v[94:95]
	v_add_f64 v[52:53], v[38:39], -v[44:45]
	v_add_f64 v[90:91], v[48:49], -v[26:27]
	;; [unrolled: 1-line block ×3, first 2 shown]
	v_fma_f64 v[96:97], v[50:51], s[4:5], v[96:97]
	v_add_f64 v[108:109], v[38:39], v[44:45]
	v_add_f64 v[24:25], v[24:25], v[40:41]
	v_fma_f64 v[30:31], v[50:51], s[14:15], v[30:31]
	v_add_f64 v[28:29], v[28:29], v[26:27]
	v_add_f64 v[106:107], v[48:49], v[46:47]
	v_fma_f64 v[40:41], v[52:53], s[14:15], v[42:43]
	v_add_f64 v[42:43], v[90:91], v[102:103]
	v_fma_f64 v[50:51], v[100:101], s[0:1], v[94:95]
	v_fma_f64 v[90:91], v[108:109], -0.5, v[34:35]
	v_add_f64 v[94:95], v[48:49], -v[46:47]
	v_fma_f64 v[96:97], v[24:25], s[12:13], v[96:97]
	v_fma_f64 v[102:103], v[24:25], s[12:13], v[30:31]
	v_add_f64 v[24:25], v[36:37], v[58:59]
	v_add_f64 v[28:29], v[28:29], v[54:55]
	v_fma_f64 v[32:33], v[106:107], -0.5, v[32:33]
	v_fma_f64 v[30:31], v[42:43], s[12:13], v[40:41]
	v_fma_f64 v[40:41], v[52:53], s[4:5], v[50:51]
	;; [unrolled: 1-line block ×3, first 2 shown]
	v_add_f64 v[108:109], v[26:27], -v[54:55]
	v_add_f64 v[110:111], v[36:37], -v[38:39]
	;; [unrolled: 1-line block ×3, first 2 shown]
	v_fma_f64 v[24:25], v[24:25], -0.5, v[34:35]
	v_add_f64 v[34:35], v[34:35], v[36:37]
	v_add_f64 v[106:107], v[28:29], v[46:47]
	v_fma_f64 v[28:29], v[52:53], s[0:1], v[32:33]
	v_add_f64 v[26:27], v[26:27], -v[48:49]
	v_add_f64 v[46:47], v[54:55], -v[46:47]
	v_fma_f64 v[32:33], v[52:53], s[2:3], v[32:33]
	v_fma_f64 v[48:49], v[108:109], s[4:5], v[50:51]
	v_add_f64 v[50:51], v[110:111], v[112:113]
	v_fma_f64 v[52:53], v[108:109], s[2:3], v[24:25]
	v_add_f64 v[36:37], v[38:39], -v[36:37]
	v_add_f64 v[54:55], v[44:45], -v[58:59]
	v_fma_f64 v[24:25], v[108:109], s[0:1], v[24:25]
	v_add_f64 v[34:35], v[34:35], v[38:39]
	v_fma_f64 v[38:39], v[94:95], s[2:3], v[90:91]
	v_fma_f64 v[28:29], v[100:101], s[14:15], v[28:29]
	v_add_f64 v[26:27], v[26:27], v[46:47]
	v_fma_f64 v[32:33], v[100:101], s[4:5], v[32:33]
	v_fma_f64 v[46:47], v[50:51], s[12:13], v[48:49]
	;; [unrolled: 1-line block ×3, first 2 shown]
	v_add_f64 v[36:37], v[36:37], v[54:55]
	v_fma_f64 v[24:25], v[94:95], s[14:15], v[24:25]
	v_add_f64 v[34:35], v[34:35], v[44:45]
	v_fma_f64 v[38:39], v[108:109], s[14:15], v[38:39]
	v_fma_f64 v[40:41], v[42:43], s[12:13], v[40:41]
	;; [unrolled: 1-line block ×4, first 2 shown]
	v_mul_f64 v[28:29], v[46:47], s[14:15]
	v_fma_f64 v[32:33], v[36:37], s[12:13], v[48:49]
	v_fma_f64 v[36:37], v[36:37], s[12:13], v[24:25]
	v_add_f64 v[54:55], v[34:35], v[58:59]
	v_fma_f64 v[34:35], v[50:51], s[12:13], v[38:39]
	s_mov_b32 s16, 0x9b97f4a8
	s_mov_b32 s17, 0x3fe9e377
	v_mul_f64 v[46:47], v[46:47], s[16:17]
	v_fma_f64 v[48:49], v[30:31], s[16:17], v[28:29]
	v_mul_f64 v[28:29], v[32:33], s[2:3]
	v_mul_f64 v[38:39], v[36:37], s[2:3]
	s_mov_b32 s3, 0xbfd3c6ef
	s_mov_b32 s2, s12
	v_mul_f64 v[32:33], v[32:33], s[12:13]
	v_mul_f64 v[44:45], v[34:35], s[14:15]
	s_mov_b32 s15, 0xbfe9e377
	s_mov_b32 s14, s16
	v_mul_f64 v[36:37], v[36:37], s[2:3]
	v_mul_f64 v[34:35], v[34:35], s[14:15]
	v_fma_f64 v[94:95], v[30:31], s[4:5], v[46:47]
	v_fma_f64 v[50:51], v[42:43], s[12:13], v[28:29]
	;; [unrolled: 1-line block ×5, first 2 shown]
	v_add_f64 v[24:25], v[60:61], v[106:107]
	v_fma_f64 v[108:109], v[26:27], s[0:1], v[36:37]
	v_fma_f64 v[110:111], v[40:41], s[4:5], v[34:35]
	v_add_f64 v[26:27], v[92:93], v[54:55]
	v_add_f64 v[28:29], v[56:57], v[48:49]
	;; [unrolled: 1-line block ×9, first 2 shown]
	v_add_f64 v[44:45], v[60:61], -v[106:107]
	v_add_f64 v[46:47], v[92:93], -v[54:55]
	;; [unrolled: 1-line block ×10, first 2 shown]
	s_waitcnt lgkmcnt(0)
	; wave barrier
	ds_write_b128 v138, v[24:27]
	ds_write_b128 v138, v[28:31] offset:96
	ds_write_b128 v138, v[32:35] offset:192
	;; [unrolled: 1-line block ×9, first 2 shown]
	s_waitcnt lgkmcnt(0)
	; wave barrier
	s_waitcnt lgkmcnt(0)
	ds_read_b128 v[24:27], v133 offset:960
	ds_read_b128 v[28:31], v133
	ds_read_b128 v[32:35], v133 offset:192
	ds_read_b128 v[36:39], v133 offset:1152
	;; [unrolled: 1-line block ×4, first 2 shown]
	s_waitcnt lgkmcnt(5)
	v_mul_f64 v[64:65], v[70:71], v[26:27]
	v_mul_f64 v[66:67], v[70:71], v[24:25]
	s_waitcnt lgkmcnt(2)
	v_mul_f64 v[70:71], v[78:79], v[38:39]
	v_mul_f64 v[78:79], v[78:79], v[36:37]
	ds_read_b128 v[48:51], v133 offset:384
	ds_read_b128 v[52:55], v133 offset:576
	;; [unrolled: 1-line block ×4, first 2 shown]
	s_mov_b32 s2, 0x11111111
	s_mov_b32 s3, 0x3f811111
	s_mul_i32 s5, s8, 0x140
	v_fma_f64 v[24:25], v[68:69], v[24:25], v[64:65]
	v_fma_f64 v[26:27], v[68:69], v[26:27], -v[66:67]
	s_waitcnt lgkmcnt(5)
	v_mul_f64 v[64:65], v[74:75], v[42:43]
	v_mul_f64 v[66:67], v[74:75], v[40:41]
	v_fma_f64 v[36:37], v[76:77], v[36:37], v[70:71]
	s_waitcnt lgkmcnt(1)
	v_mul_f64 v[68:69], v[82:83], v[58:59]
	v_mul_f64 v[70:71], v[82:83], v[56:57]
	v_fma_f64 v[38:39], v[76:77], v[38:39], -v[78:79]
	s_waitcnt lgkmcnt(0)
	v_mul_f64 v[74:75], v[86:87], v[62:63]
	v_mul_f64 v[76:77], v[86:87], v[60:61]
	v_fma_f64 v[40:41], v[72:73], v[40:41], v[64:65]
	v_fma_f64 v[42:43], v[72:73], v[42:43], -v[66:67]
	v_add_f64 v[24:25], v[28:29], -v[24:25]
	v_fma_f64 v[56:57], v[80:81], v[56:57], v[68:69]
	v_fma_f64 v[58:59], v[80:81], v[58:59], -v[70:71]
	v_add_f64 v[26:27], v[30:31], -v[26:27]
	;; [unrolled: 3-line block ×3, first 2 shown]
	v_add_f64 v[38:39], v[34:35], -v[38:39]
	v_add_f64 v[40:41], v[48:49], -v[40:41]
	;; [unrolled: 1-line block ×5, first 2 shown]
	v_fma_f64 v[28:29], v[28:29], 2.0, -v[24:25]
	v_fma_f64 v[30:31], v[30:31], 2.0, -v[26:27]
	v_add_f64 v[60:61], v[44:45], -v[60:61]
	v_add_f64 v[62:63], v[46:47], -v[62:63]
	v_fma_f64 v[32:33], v[32:33], 2.0, -v[36:37]
	v_fma_f64 v[34:35], v[34:35], 2.0, -v[38:39]
	;; [unrolled: 1-line block ×8, first 2 shown]
	ds_write_b128 v133, v[28:31]
	ds_write_b128 v133, v[24:27] offset:960
	ds_write_b128 v133, v[32:35] offset:192
	;; [unrolled: 1-line block ×7, first 2 shown]
	ds_write_b128 v139, v[44:47]
	ds_write_b128 v139, v[60:63] offset:960
	s_waitcnt lgkmcnt(0)
	; wave barrier
	s_waitcnt lgkmcnt(0)
	ds_read_b128 v[24:27], v133
	ds_read_b128 v[28:31], v133 offset:320
	v_mad_u64_u32 v[32:33], s[0:1], s10, v130, 0
	s_waitcnt lgkmcnt(1)
	v_mul_f64 v[34:35], v[14:15], v[26:27]
	v_mul_f64 v[14:15], v[14:15], v[24:25]
	v_mad_u64_u32 v[36:37], s[0:1], s11, v130, v[33:34]
	v_mad_u64_u32 v[37:38], s[0:1], s8, v131, 0
	v_fma_f64 v[24:25], v[12:13], v[24:25], v[34:35]
	v_fma_f64 v[14:15], v[12:13], v[26:27], -v[14:15]
	v_mov_b32_e32 v12, v38
	v_mad_u64_u32 v[26:27], s[0:1], s9, v131, v[12:13]
	v_mov_b32_e32 v33, v36
	v_mov_b32_e32 v38, v26
	s_waitcnt lgkmcnt(0)
	v_mul_f64 v[26:27], v[10:11], v[30:31]
	v_mul_f64 v[12:13], v[24:25], s[2:3]
	v_lshlrev_b64 v[24:25], 4, v[32:33]
	v_mul_f64 v[32:33], v[10:11], v[28:29]
	v_mul_f64 v[14:15], v[14:15], s[2:3]
	v_mov_b32_e32 v11, s7
	v_add_co_u32_e64 v10, s[0:1], s6, v24
	v_fma_f64 v[28:29], v[8:9], v[28:29], v[26:27]
	v_addc_co_u32_e64 v11, s[0:1], v11, v25, s[0:1]
	ds_read_b128 v[24:27], v133 offset:640
	v_lshlrev_b64 v[34:35], 4, v[37:38]
	v_fma_f64 v[8:9], v[8:9], v[30:31], -v[32:33]
	v_add_co_u32_e64 v32, s[0:1], v10, v34
	v_addc_co_u32_e64 v33, s[0:1], v11, v35, s[0:1]
	global_store_dwordx4 v[32:33], v[12:15], off
	s_mul_i32 s0, s9, 0x140
	v_mul_f64 v[12:13], v[28:29], s[2:3]
	ds_read_b128 v[28:31], v133 offset:960
	s_waitcnt lgkmcnt(1)
	v_mul_f64 v[34:35], v[22:23], v[26:27]
	v_mul_f64 v[22:23], v[22:23], v[24:25]
	;; [unrolled: 1-line block ×3, first 2 shown]
	s_mul_hi_u32 s1, s8, 0x140
	s_add_i32 s4, s1, s0
	v_mov_b32_e32 v36, s4
	v_fma_f64 v[8:9], v[20:21], v[24:25], v[34:35]
	v_fma_f64 v[20:21], v[20:21], v[26:27], -v[22:23]
	s_waitcnt lgkmcnt(0)
	v_mul_f64 v[22:23], v[18:19], v[30:31]
	v_add_co_u32_e64 v24, s[0:1], s5, v32
	v_addc_co_u32_e64 v25, s[0:1], v33, v36, s[0:1]
	global_store_dwordx4 v[24:25], v[12:15], off
	v_mul_f64 v[18:19], v[18:19], v[28:29]
	v_mul_f64 v[12:13], v[8:9], s[2:3]
	;; [unrolled: 1-line block ×3, first 2 shown]
	v_fma_f64 v[8:9], v[16:17], v[28:29], v[22:23]
	v_mov_b32_e32 v20, s4
	v_add_co_u32_e64 v24, s[0:1], s5, v24
	v_addc_co_u32_e64 v25, s[0:1], v25, v20, s[0:1]
	v_fma_f64 v[18:19], v[16:17], v[30:31], -v[18:19]
	global_store_dwordx4 v[24:25], v[12:15], off
	ds_read_b128 v[12:15], v133 offset:1280
	ds_read_b128 v[20:23], v133 offset:1600
	v_mul_f64 v[16:17], v[8:9], s[2:3]
	v_mad_u64_u32 v[26:27], s[0:1], s8, v134, 0
	s_waitcnt lgkmcnt(1)
	v_mul_f64 v[8:9], v[2:3], v[14:15]
	v_mul_f64 v[2:3], v[2:3], v[12:13]
	v_mov_b32_e32 v28, s4
	v_add_co_u32_e64 v24, s[0:1], s5, v24
	v_addc_co_u32_e64 v25, s[0:1], v25, v28, s[0:1]
	v_mul_f64 v[18:19], v[18:19], s[2:3]
	v_fma_f64 v[8:9], v[0:1], v[12:13], v[8:9]
	v_fma_f64 v[2:3], v[0:1], v[14:15], -v[2:3]
	s_waitcnt lgkmcnt(0)
	v_mul_f64 v[12:13], v[6:7], v[22:23]
	v_mul_f64 v[6:7], v[6:7], v[20:21]
	v_mov_b32_e32 v0, v27
	v_mad_u64_u32 v[14:15], s[0:1], s9, v134, v[0:1]
	global_store_dwordx4 v[24:25], v[16:19], off
	v_mul_f64 v[0:1], v[8:9], s[2:3]
	v_mul_f64 v[2:3], v[2:3], s[2:3]
	v_fma_f64 v[8:9], v[4:5], v[20:21], v[12:13]
	v_fma_f64 v[4:5], v[4:5], v[22:23], -v[6:7]
	v_mov_b32_e32 v27, v14
	v_lshlrev_b64 v[6:7], 4, v[26:27]
	v_add_co_u32_e64 v6, s[0:1], v10, v6
	v_addc_co_u32_e64 v7, s[0:1], v11, v7, s[0:1]
	global_store_dwordx4 v[6:7], v[0:3], off
	v_mul_f64 v[4:5], v[4:5], s[2:3]
	v_mul_f64 v[2:3], v[8:9], s[2:3]
	s_mul_i32 s0, s9, 40
	s_mul_hi_u32 s1, s8, 40
	s_add_i32 s1, s1, s0
	s_mul_i32 s0, s8, 40
	s_lshl_b64 s[4:5], s[0:1], 4
	v_mov_b32_e32 v1, s5
	v_add_co_u32_e64 v0, s[0:1], s4, v24
	v_addc_co_u32_e64 v1, s[0:1], v25, v1, s[0:1]
	global_store_dwordx4 v[0:1], v[2:5], off
	s_and_b64 exec, exec, vcc
	s_cbranch_execz .LBB0_15
; %bb.14:
	global_load_dwordx4 v[2:5], v[128:129], off offset:192
	global_load_dwordx4 v[6:9], v[128:129], off offset:512
	;; [unrolled: 1-line block ×6, first 2 shown]
	v_mov_b32_e32 v54, 0xfffffa80
	v_mad_u64_u32 v[52:53], s[0:1], s8, v132, 0
	v_mad_u64_u32 v[54:55], s[0:1], s8, v54, v[0:1]
	v_or_b32_e32 v61, 0x48, v131
	v_or_b32_e32 v63, 0x70, v131
	v_mad_u64_u32 v[0:1], s[0:1], s8, v61, 0
	v_mad_u64_u32 v[56:57], s[0:1], s8, v63, 0
	;; [unrolled: 1-line block ×3, first 2 shown]
	s_mul_i32 s6, s9, 0xfffffa80
	v_mov_b32_e32 v64, s5
	s_sub_i32 s5, s6, s8
	v_add_u32_e32 v55, s5, v55
	v_mov_b32_e32 v53, v57
	v_add_co_u32_e32 v59, vcc, s4, v54
	v_addc_co_u32_e32 v60, vcc, v55, v64, vcc
	ds_read_b128 v[28:31], v133 offset:192
	ds_read_b128 v[32:35], v133 offset:512
	;; [unrolled: 1-line block ×6, first 2 shown]
	s_waitcnt vmcnt(5)
	v_mad_u64_u32 v[61:62], s[0:1], s9, v61, v[1:2]
	v_mad_u64_u32 v[62:63], s[0:1], s9, v63, v[53:54]
	v_mov_b32_e32 v53, v58
	v_add_co_u32_e32 v63, vcc, s4, v59
	v_lshlrev_b64 v[52:53], 4, v[52:53]
	v_addc_co_u32_e32 v64, vcc, v60, v64, vcc
	v_mov_b32_e32 v1, v61
	v_lshlrev_b64 v[0:1], 4, v[0:1]
	v_add_co_u32_e32 v52, vcc, v10, v52
	v_addc_co_u32_e32 v53, vcc, v11, v53, vcc
	v_add_co_u32_e32 v61, vcc, v10, v0
	v_mov_b32_e32 v57, v62
	v_addc_co_u32_e32 v62, vcc, v11, v1, vcc
	s_waitcnt lgkmcnt(5)
	v_mul_f64 v[0:1], v[30:31], v[4:5]
	v_mul_f64 v[4:5], v[28:29], v[4:5]
	s_waitcnt vmcnt(4) lgkmcnt(4)
	v_mul_f64 v[65:66], v[34:35], v[8:9]
	v_mul_f64 v[8:9], v[32:33], v[8:9]
	s_waitcnt vmcnt(3) lgkmcnt(3)
	;; [unrolled: 3-line block ×5, first 2 shown]
	v_mul_f64 v[73:74], v[50:51], v[26:27]
	v_mul_f64 v[26:27], v[48:49], v[26:27]
	v_fma_f64 v[0:1], v[28:29], v[2:3], v[0:1]
	v_fma_f64 v[2:3], v[2:3], v[30:31], -v[4:5]
	v_fma_f64 v[4:5], v[32:33], v[6:7], v[65:66]
	v_fma_f64 v[6:7], v[6:7], v[34:35], -v[8:9]
	;; [unrolled: 2-line block ×6, first 2 shown]
	v_mul_f64 v[0:1], v[0:1], s[2:3]
	v_mul_f64 v[2:3], v[2:3], s[2:3]
	;; [unrolled: 1-line block ×10, first 2 shown]
	v_lshlrev_b64 v[56:57], 4, v[56:57]
	v_mul_f64 v[24:25], v[32:33], s[2:3]
	v_mul_f64 v[26:27], v[26:27], s[2:3]
	v_add_co_u32_e32 v8, vcc, v10, v56
	v_addc_co_u32_e32 v9, vcc, v11, v57, vcc
	global_store_dwordx4 v[54:55], v[0:3], off
	global_store_dwordx4 v[52:53], v[4:7], off
	;; [unrolled: 1-line block ×6, first 2 shown]
.LBB0_15:
	s_endpgm
	.section	.rodata,"a",@progbits
	.p2align	6, 0x0
	.amdhsa_kernel bluestein_single_back_len120_dim1_dp_op_CI_CI
		.amdhsa_group_segment_fixed_size 9600
		.amdhsa_private_segment_fixed_size 0
		.amdhsa_kernarg_size 104
		.amdhsa_user_sgpr_count 6
		.amdhsa_user_sgpr_private_segment_buffer 1
		.amdhsa_user_sgpr_dispatch_ptr 0
		.amdhsa_user_sgpr_queue_ptr 0
		.amdhsa_user_sgpr_kernarg_segment_ptr 1
		.amdhsa_user_sgpr_dispatch_id 0
		.amdhsa_user_sgpr_flat_scratch_init 0
		.amdhsa_user_sgpr_private_segment_size 0
		.amdhsa_uses_dynamic_stack 0
		.amdhsa_system_sgpr_private_segment_wavefront_offset 0
		.amdhsa_system_sgpr_workgroup_id_x 1
		.amdhsa_system_sgpr_workgroup_id_y 0
		.amdhsa_system_sgpr_workgroup_id_z 0
		.amdhsa_system_sgpr_workgroup_info 0
		.amdhsa_system_vgpr_workitem_id 0
		.amdhsa_next_free_vgpr 182
		.amdhsa_next_free_sgpr 22
		.amdhsa_reserve_vcc 1
		.amdhsa_reserve_flat_scratch 0
		.amdhsa_float_round_mode_32 0
		.amdhsa_float_round_mode_16_64 0
		.amdhsa_float_denorm_mode_32 3
		.amdhsa_float_denorm_mode_16_64 3
		.amdhsa_dx10_clamp 1
		.amdhsa_ieee_mode 1
		.amdhsa_fp16_overflow 0
		.amdhsa_exception_fp_ieee_invalid_op 0
		.amdhsa_exception_fp_denorm_src 0
		.amdhsa_exception_fp_ieee_div_zero 0
		.amdhsa_exception_fp_ieee_overflow 0
		.amdhsa_exception_fp_ieee_underflow 0
		.amdhsa_exception_fp_ieee_inexact 0
		.amdhsa_exception_int_div_zero 0
	.end_amdhsa_kernel
	.text
.Lfunc_end0:
	.size	bluestein_single_back_len120_dim1_dp_op_CI_CI, .Lfunc_end0-bluestein_single_back_len120_dim1_dp_op_CI_CI
                                        ; -- End function
	.section	.AMDGPU.csdata,"",@progbits
; Kernel info:
; codeLenInByte = 10448
; NumSgprs: 26
; NumVgprs: 182
; ScratchSize: 0
; MemoryBound: 0
; FloatMode: 240
; IeeeMode: 1
; LDSByteSize: 9600 bytes/workgroup (compile time only)
; SGPRBlocks: 3
; VGPRBlocks: 45
; NumSGPRsForWavesPerEU: 26
; NumVGPRsForWavesPerEU: 182
; Occupancy: 1
; WaveLimiterHint : 1
; COMPUTE_PGM_RSRC2:SCRATCH_EN: 0
; COMPUTE_PGM_RSRC2:USER_SGPR: 6
; COMPUTE_PGM_RSRC2:TRAP_HANDLER: 0
; COMPUTE_PGM_RSRC2:TGID_X_EN: 1
; COMPUTE_PGM_RSRC2:TGID_Y_EN: 0
; COMPUTE_PGM_RSRC2:TGID_Z_EN: 0
; COMPUTE_PGM_RSRC2:TIDIG_COMP_CNT: 0
	.type	__hip_cuid_c601874e389de8c,@object ; @__hip_cuid_c601874e389de8c
	.section	.bss,"aw",@nobits
	.globl	__hip_cuid_c601874e389de8c
__hip_cuid_c601874e389de8c:
	.byte	0                               ; 0x0
	.size	__hip_cuid_c601874e389de8c, 1

	.ident	"AMD clang version 19.0.0git (https://github.com/RadeonOpenCompute/llvm-project roc-6.4.0 25133 c7fe45cf4b819c5991fe208aaa96edf142730f1d)"
	.section	".note.GNU-stack","",@progbits
	.addrsig
	.addrsig_sym __hip_cuid_c601874e389de8c
	.amdgpu_metadata
---
amdhsa.kernels:
  - .args:
      - .actual_access:  read_only
        .address_space:  global
        .offset:         0
        .size:           8
        .value_kind:     global_buffer
      - .actual_access:  read_only
        .address_space:  global
        .offset:         8
        .size:           8
        .value_kind:     global_buffer
      - .actual_access:  read_only
        .address_space:  global
        .offset:         16
        .size:           8
        .value_kind:     global_buffer
      - .actual_access:  read_only
        .address_space:  global
        .offset:         24
        .size:           8
        .value_kind:     global_buffer
      - .actual_access:  read_only
        .address_space:  global
        .offset:         32
        .size:           8
        .value_kind:     global_buffer
      - .offset:         40
        .size:           8
        .value_kind:     by_value
      - .address_space:  global
        .offset:         48
        .size:           8
        .value_kind:     global_buffer
      - .address_space:  global
        .offset:         56
        .size:           8
        .value_kind:     global_buffer
      - .address_space:  global
        .offset:         64
        .size:           8
        .value_kind:     global_buffer
      - .address_space:  global
        .offset:         72
        .size:           8
        .value_kind:     global_buffer
      - .offset:         80
        .size:           4
        .value_kind:     by_value
      - .address_space:  global
        .offset:         88
        .size:           8
        .value_kind:     global_buffer
      - .address_space:  global
        .offset:         96
        .size:           8
        .value_kind:     global_buffer
    .group_segment_fixed_size: 9600
    .kernarg_segment_align: 8
    .kernarg_segment_size: 104
    .language:       OpenCL C
    .language_version:
      - 2
      - 0
    .max_flat_workgroup_size: 60
    .name:           bluestein_single_back_len120_dim1_dp_op_CI_CI
    .private_segment_fixed_size: 0
    .sgpr_count:     26
    .sgpr_spill_count: 0
    .symbol:         bluestein_single_back_len120_dim1_dp_op_CI_CI.kd
    .uniform_work_group_size: 1
    .uses_dynamic_stack: false
    .vgpr_count:     182
    .vgpr_spill_count: 0
    .wavefront_size: 64
amdhsa.target:   amdgcn-amd-amdhsa--gfx906
amdhsa.version:
  - 1
  - 2
...

	.end_amdgpu_metadata
